;; amdgpu-corpus repo=LLNL/RAJAPerf kind=compiled arch=gfx90a opt=O3
	.text
	.amdgcn_target "amdgcn-amd-amdhsa--gfx90a"
	.amdhsa_code_object_version 6
	.section	.text._ZN8rajaperf9polybench12poly_gesummvILm256EEEvPdS2_S2_S2_ddl,"axG",@progbits,_ZN8rajaperf9polybench12poly_gesummvILm256EEEvPdS2_S2_S2_ddl,comdat
	.protected	_ZN8rajaperf9polybench12poly_gesummvILm256EEEvPdS2_S2_S2_ddl ; -- Begin function _ZN8rajaperf9polybench12poly_gesummvILm256EEEvPdS2_S2_S2_ddl
	.globl	_ZN8rajaperf9polybench12poly_gesummvILm256EEEvPdS2_S2_S2_ddl
	.p2align	8
	.type	_ZN8rajaperf9polybench12poly_gesummvILm256EEEvPdS2_S2_S2_ddl,@function
_ZN8rajaperf9polybench12poly_gesummvILm256EEEvPdS2_S2_S2_ddl: ; @_ZN8rajaperf9polybench12poly_gesummvILm256EEEvPdS2_S2_S2_ddl
; %bb.0:
	s_load_dwordx4 s[0:3], s[4:5], 0x30
	s_mov_b32 s7, 0
	s_waitcnt lgkmcnt(0)
	s_lshl_b64 s[2:3], s[6:7], 8
	v_or_b32_e32 v0, s2, v0
	v_mov_b32_e32 v1, s3
	v_cmp_gt_i64_e32 vcc, s[0:1], v[0:1]
	s_and_saveexec_b64 s[2:3], vcc
	s_cbranch_execz .LBB0_4
; %bb.1:
	s_load_dwordx8 s[8:15], s[4:5], 0x0
	s_load_dwordx4 s[16:19], s[4:5], 0x20
	v_mul_lo_u32 v4, s1, v0
	v_mul_lo_u32 v5, s0, v1
	v_mad_u64_u32 v[2:3], s[2:3], s0, v0, 0
	v_add3_u32 v3, v3, v5, v4
	v_lshlrev_b64 v[4:5], 3, v[2:3]
	s_waitcnt lgkmcnt(0)
	v_mov_b32_e32 v3, s13
	v_add_co_u32_e32 v2, vcc, s12, v4
	v_addc_co_u32_e32 v3, vcc, v3, v5, vcc
	v_mov_b32_e32 v6, s15
	v_add_co_u32_e32 v8, vcc, s14, v4
	v_addc_co_u32_e32 v9, vcc, v6, v5, vcc
	v_pk_mov_b32 v[4:5], 0, 0
	v_pk_mov_b32 v[6:7], v[4:5], v[4:5] op_sel:[0,1]
.LBB0_2:                                ; =>This Inner Loop Header: Depth=1
	global_load_dwordx2 v[10:11], v[2:3], off
	global_load_dwordx2 v[12:13], v[8:9], off
	s_load_dwordx2 s[2:3], s[8:9], 0x0
	s_add_u32 s0, s0, -1
	v_add_co_u32_e32 v2, vcc, 8, v2
	s_addc_u32 s1, s1, -1
	v_addc_co_u32_e32 v3, vcc, 0, v3, vcc
	s_add_u32 s8, s8, 8
	v_add_co_u32_e32 v8, vcc, 8, v8
	s_addc_u32 s9, s9, 0
	v_addc_co_u32_e32 v9, vcc, 0, v9, vcc
	s_cmp_eq_u64 s[0:1], 0
	s_waitcnt vmcnt(1) lgkmcnt(0)
	v_fmac_f64_e32 v[6:7], s[2:3], v[10:11]
	s_waitcnt vmcnt(0)
	v_fmac_f64_e32 v[4:5], s[2:3], v[12:13]
	s_cbranch_scc0 .LBB0_2
; %bb.3:
	v_lshlrev_b64 v[0:1], 3, v[0:1]
	v_mul_f64 v[2:3], v[4:5], s[18:19]
	v_mov_b32_e32 v4, s11
	v_add_co_u32_e32 v0, vcc, s10, v0
	v_fmac_f64_e32 v[2:3], s[16:17], v[6:7]
	v_addc_co_u32_e32 v1, vcc, v4, v1, vcc
	global_store_dwordx2 v[0:1], v[2:3], off
.LBB0_4:
	s_endpgm
	.section	.rodata,"a",@progbits
	.p2align	6, 0x0
	.amdhsa_kernel _ZN8rajaperf9polybench12poly_gesummvILm256EEEvPdS2_S2_S2_ddl
		.amdhsa_group_segment_fixed_size 0
		.amdhsa_private_segment_fixed_size 0
		.amdhsa_kernarg_size 56
		.amdhsa_user_sgpr_count 6
		.amdhsa_user_sgpr_private_segment_buffer 1
		.amdhsa_user_sgpr_dispatch_ptr 0
		.amdhsa_user_sgpr_queue_ptr 0
		.amdhsa_user_sgpr_kernarg_segment_ptr 1
		.amdhsa_user_sgpr_dispatch_id 0
		.amdhsa_user_sgpr_flat_scratch_init 0
		.amdhsa_user_sgpr_kernarg_preload_length 0
		.amdhsa_user_sgpr_kernarg_preload_offset 0
		.amdhsa_user_sgpr_private_segment_size 0
		.amdhsa_uses_dynamic_stack 0
		.amdhsa_system_sgpr_private_segment_wavefront_offset 0
		.amdhsa_system_sgpr_workgroup_id_x 1
		.amdhsa_system_sgpr_workgroup_id_y 0
		.amdhsa_system_sgpr_workgroup_id_z 0
		.amdhsa_system_sgpr_workgroup_info 0
		.amdhsa_system_vgpr_workitem_id 0
		.amdhsa_next_free_vgpr 14
		.amdhsa_next_free_sgpr 20
		.amdhsa_accum_offset 16
		.amdhsa_reserve_vcc 1
		.amdhsa_reserve_flat_scratch 0
		.amdhsa_float_round_mode_32 0
		.amdhsa_float_round_mode_16_64 0
		.amdhsa_float_denorm_mode_32 3
		.amdhsa_float_denorm_mode_16_64 3
		.amdhsa_dx10_clamp 1
		.amdhsa_ieee_mode 1
		.amdhsa_fp16_overflow 0
		.amdhsa_tg_split 0
		.amdhsa_exception_fp_ieee_invalid_op 0
		.amdhsa_exception_fp_denorm_src 0
		.amdhsa_exception_fp_ieee_div_zero 0
		.amdhsa_exception_fp_ieee_overflow 0
		.amdhsa_exception_fp_ieee_underflow 0
		.amdhsa_exception_fp_ieee_inexact 0
		.amdhsa_exception_int_div_zero 0
	.end_amdhsa_kernel
	.section	.text._ZN8rajaperf9polybench12poly_gesummvILm256EEEvPdS2_S2_S2_ddl,"axG",@progbits,_ZN8rajaperf9polybench12poly_gesummvILm256EEEvPdS2_S2_S2_ddl,comdat
.Lfunc_end0:
	.size	_ZN8rajaperf9polybench12poly_gesummvILm256EEEvPdS2_S2_S2_ddl, .Lfunc_end0-_ZN8rajaperf9polybench12poly_gesummvILm256EEEvPdS2_S2_S2_ddl
                                        ; -- End function
	.section	.AMDGPU.csdata,"",@progbits
; Kernel info:
; codeLenInByte = 264
; NumSgprs: 24
; NumVgprs: 14
; NumAgprs: 0
; TotalNumVgprs: 14
; ScratchSize: 0
; MemoryBound: 0
; FloatMode: 240
; IeeeMode: 1
; LDSByteSize: 0 bytes/workgroup (compile time only)
; SGPRBlocks: 2
; VGPRBlocks: 1
; NumSGPRsForWavesPerEU: 24
; NumVGPRsForWavesPerEU: 14
; AccumOffset: 16
; Occupancy: 8
; WaveLimiterHint : 0
; COMPUTE_PGM_RSRC2:SCRATCH_EN: 0
; COMPUTE_PGM_RSRC2:USER_SGPR: 6
; COMPUTE_PGM_RSRC2:TRAP_HANDLER: 0
; COMPUTE_PGM_RSRC2:TGID_X_EN: 1
; COMPUTE_PGM_RSRC2:TGID_Y_EN: 0
; COMPUTE_PGM_RSRC2:TGID_Z_EN: 0
; COMPUTE_PGM_RSRC2:TIDIG_COMP_CNT: 0
; COMPUTE_PGM_RSRC3_GFX90A:ACCUM_OFFSET: 3
; COMPUTE_PGM_RSRC3_GFX90A:TG_SPLIT: 0
	.section	.text._ZN4RAJA8internal22HipKernelLauncherFixedILi256ENS0_8LoopDataIN4camp5tupleIJNS_4SpanINS_9Iterators16numeric_iteratorIllPlEElEESA_EEENS4_IJddEEENS3_9resources2v13HipEJZN8rajaperf9polybench17POLYBENCH_GESUMMV17runHipVariantImplILm256EEEvNSG_9VariantIDEEUlRdSL_E_ZNSJ_ILm256EEEvSK_EUlllSL_SL_E_ZNSJ_ILm256EEEvSK_EUllSL_SL_E_EEENS0_24HipStatementListExecutorISP_NS3_4listIJNS_9statement3ForILl0ENS_6policy3hip11hip_indexerINS_17iteration_mapping6DirectELNS_23kernel_sync_requirementE0EJNS_3hip11IndexGlobalILNS_9named_dimE0ELi256ELi0EEEEEEJNSS_6LambdaILl0EJNSR_IJNS0_9LambdaArgINS0_18lambda_arg_param_tELl0EEENS16_IS17_Ll1EEEEEEEEENST_ILl1ENSU_10sequential8seq_execEJNS15_ILl1EJNSR_IJNS16_INS0_16lambda_arg_seg_tELl0EEENS16_IS1E_Ll1EEEEEES1A_EEEEEENS15_ILl2EJNSR_IJS1F_EEES1A_EEEEEEEEENS0_9LoopTypesINSR_IJvvEEES1P_EEEEEEvT0_,"axG",@progbits,_ZN4RAJA8internal22HipKernelLauncherFixedILi256ENS0_8LoopDataIN4camp5tupleIJNS_4SpanINS_9Iterators16numeric_iteratorIllPlEElEESA_EEENS4_IJddEEENS3_9resources2v13HipEJZN8rajaperf9polybench17POLYBENCH_GESUMMV17runHipVariantImplILm256EEEvNSG_9VariantIDEEUlRdSL_E_ZNSJ_ILm256EEEvSK_EUlllSL_SL_E_ZNSJ_ILm256EEEvSK_EUllSL_SL_E_EEENS0_24HipStatementListExecutorISP_NS3_4listIJNS_9statement3ForILl0ENS_6policy3hip11hip_indexerINS_17iteration_mapping6DirectELNS_23kernel_sync_requirementE0EJNS_3hip11IndexGlobalILNS_9named_dimE0ELi256ELi0EEEEEEJNSS_6LambdaILl0EJNSR_IJNS0_9LambdaArgINS0_18lambda_arg_param_tELl0EEENS16_IS17_Ll1EEEEEEEEENST_ILl1ENSU_10sequential8seq_execEJNS15_ILl1EJNSR_IJNS16_INS0_16lambda_arg_seg_tELl0EEENS16_IS1E_Ll1EEEEEES1A_EEEEEENS15_ILl2EJNSR_IJS1F_EEES1A_EEEEEEEEENS0_9LoopTypesINSR_IJvvEEES1P_EEEEEEvT0_,comdat
	.protected	_ZN4RAJA8internal22HipKernelLauncherFixedILi256ENS0_8LoopDataIN4camp5tupleIJNS_4SpanINS_9Iterators16numeric_iteratorIllPlEElEESA_EEENS4_IJddEEENS3_9resources2v13HipEJZN8rajaperf9polybench17POLYBENCH_GESUMMV17runHipVariantImplILm256EEEvNSG_9VariantIDEEUlRdSL_E_ZNSJ_ILm256EEEvSK_EUlllSL_SL_E_ZNSJ_ILm256EEEvSK_EUllSL_SL_E_EEENS0_24HipStatementListExecutorISP_NS3_4listIJNS_9statement3ForILl0ENS_6policy3hip11hip_indexerINS_17iteration_mapping6DirectELNS_23kernel_sync_requirementE0EJNS_3hip11IndexGlobalILNS_9named_dimE0ELi256ELi0EEEEEEJNSS_6LambdaILl0EJNSR_IJNS0_9LambdaArgINS0_18lambda_arg_param_tELl0EEENS16_IS17_Ll1EEEEEEEEENST_ILl1ENSU_10sequential8seq_execEJNS15_ILl1EJNSR_IJNS16_INS0_16lambda_arg_seg_tELl0EEENS16_IS1E_Ll1EEEEEES1A_EEEEEENS15_ILl2EJNSR_IJS1F_EEES1A_EEEEEEEEENS0_9LoopTypesINSR_IJvvEEES1P_EEEEEEvT0_ ; -- Begin function _ZN4RAJA8internal22HipKernelLauncherFixedILi256ENS0_8LoopDataIN4camp5tupleIJNS_4SpanINS_9Iterators16numeric_iteratorIllPlEElEESA_EEENS4_IJddEEENS3_9resources2v13HipEJZN8rajaperf9polybench17POLYBENCH_GESUMMV17runHipVariantImplILm256EEEvNSG_9VariantIDEEUlRdSL_E_ZNSJ_ILm256EEEvSK_EUlllSL_SL_E_ZNSJ_ILm256EEEvSK_EUllSL_SL_E_EEENS0_24HipStatementListExecutorISP_NS3_4listIJNS_9statement3ForILl0ENS_6policy3hip11hip_indexerINS_17iteration_mapping6DirectELNS_23kernel_sync_requirementE0EJNS_3hip11IndexGlobalILNS_9named_dimE0ELi256ELi0EEEEEEJNSS_6LambdaILl0EJNSR_IJNS0_9LambdaArgINS0_18lambda_arg_param_tELl0EEENS16_IS17_Ll1EEEEEEEEENST_ILl1ENSU_10sequential8seq_execEJNS15_ILl1EJNSR_IJNS16_INS0_16lambda_arg_seg_tELl0EEENS16_IS1E_Ll1EEEEEES1A_EEEEEENS15_ILl2EJNSR_IJS1F_EEES1A_EEEEEEEEENS0_9LoopTypesINSR_IJvvEEES1P_EEEEEEvT0_
	.globl	_ZN4RAJA8internal22HipKernelLauncherFixedILi256ENS0_8LoopDataIN4camp5tupleIJNS_4SpanINS_9Iterators16numeric_iteratorIllPlEElEESA_EEENS4_IJddEEENS3_9resources2v13HipEJZN8rajaperf9polybench17POLYBENCH_GESUMMV17runHipVariantImplILm256EEEvNSG_9VariantIDEEUlRdSL_E_ZNSJ_ILm256EEEvSK_EUlllSL_SL_E_ZNSJ_ILm256EEEvSK_EUllSL_SL_E_EEENS0_24HipStatementListExecutorISP_NS3_4listIJNS_9statement3ForILl0ENS_6policy3hip11hip_indexerINS_17iteration_mapping6DirectELNS_23kernel_sync_requirementE0EJNS_3hip11IndexGlobalILNS_9named_dimE0ELi256ELi0EEEEEEJNSS_6LambdaILl0EJNSR_IJNS0_9LambdaArgINS0_18lambda_arg_param_tELl0EEENS16_IS17_Ll1EEEEEEEEENST_ILl1ENSU_10sequential8seq_execEJNS15_ILl1EJNSR_IJNS16_INS0_16lambda_arg_seg_tELl0EEENS16_IS1E_Ll1EEEEEES1A_EEEEEENS15_ILl2EJNSR_IJS1F_EEES1A_EEEEEEEEENS0_9LoopTypesINSR_IJvvEEES1P_EEEEEEvT0_
	.p2align	8
	.type	_ZN4RAJA8internal22HipKernelLauncherFixedILi256ENS0_8LoopDataIN4camp5tupleIJNS_4SpanINS_9Iterators16numeric_iteratorIllPlEElEESA_EEENS4_IJddEEENS3_9resources2v13HipEJZN8rajaperf9polybench17POLYBENCH_GESUMMV17runHipVariantImplILm256EEEvNSG_9VariantIDEEUlRdSL_E_ZNSJ_ILm256EEEvSK_EUlllSL_SL_E_ZNSJ_ILm256EEEvSK_EUllSL_SL_E_EEENS0_24HipStatementListExecutorISP_NS3_4listIJNS_9statement3ForILl0ENS_6policy3hip11hip_indexerINS_17iteration_mapping6DirectELNS_23kernel_sync_requirementE0EJNS_3hip11IndexGlobalILNS_9named_dimE0ELi256ELi0EEEEEEJNSS_6LambdaILl0EJNSR_IJNS0_9LambdaArgINS0_18lambda_arg_param_tELl0EEENS16_IS17_Ll1EEEEEEEEENST_ILl1ENSU_10sequential8seq_execEJNS15_ILl1EJNSR_IJNS16_INS0_16lambda_arg_seg_tELl0EEENS16_IS1E_Ll1EEEEEES1A_EEEEEENS15_ILl2EJNSR_IJS1F_EEES1A_EEEEEEEEENS0_9LoopTypesINSR_IJvvEEES1P_EEEEEEvT0_,@function
_ZN4RAJA8internal22HipKernelLauncherFixedILi256ENS0_8LoopDataIN4camp5tupleIJNS_4SpanINS_9Iterators16numeric_iteratorIllPlEElEESA_EEENS4_IJddEEENS3_9resources2v13HipEJZN8rajaperf9polybench17POLYBENCH_GESUMMV17runHipVariantImplILm256EEEvNSG_9VariantIDEEUlRdSL_E_ZNSJ_ILm256EEEvSK_EUlllSL_SL_E_ZNSJ_ILm256EEEvSK_EUllSL_SL_E_EEENS0_24HipStatementListExecutorISP_NS3_4listIJNS_9statement3ForILl0ENS_6policy3hip11hip_indexerINS_17iteration_mapping6DirectELNS_23kernel_sync_requirementE0EJNS_3hip11IndexGlobalILNS_9named_dimE0ELi256ELi0EEEEEEJNSS_6LambdaILl0EJNSR_IJNS0_9LambdaArgINS0_18lambda_arg_param_tELl0EEENS16_IS17_Ll1EEEEEEEEENST_ILl1ENSU_10sequential8seq_execEJNS15_ILl1EJNSR_IJNS16_INS0_16lambda_arg_seg_tELl0EEENS16_IS1E_Ll1EEEEEES1A_EEEEEENS15_ILl2EJNSR_IJS1F_EEES1A_EEEEEEEEENS0_9LoopTypesINSR_IJvvEEES1P_EEEEEEvT0_: ; @_ZN4RAJA8internal22HipKernelLauncherFixedILi256ENS0_8LoopDataIN4camp5tupleIJNS_4SpanINS_9Iterators16numeric_iteratorIllPlEElEESA_EEENS4_IJddEEENS3_9resources2v13HipEJZN8rajaperf9polybench17POLYBENCH_GESUMMV17runHipVariantImplILm256EEEvNSG_9VariantIDEEUlRdSL_E_ZNSJ_ILm256EEEvSK_EUlllSL_SL_E_ZNSJ_ILm256EEEvSK_EUllSL_SL_E_EEENS0_24HipStatementListExecutorISP_NS3_4listIJNS_9statement3ForILl0ENS_6policy3hip11hip_indexerINS_17iteration_mapping6DirectELNS_23kernel_sync_requirementE0EJNS_3hip11IndexGlobalILNS_9named_dimE0ELi256ELi0EEEEEEJNSS_6LambdaILl0EJNSR_IJNS0_9LambdaArgINS0_18lambda_arg_param_tELl0EEENS16_IS17_Ll1EEEEEEEEENST_ILl1ENSU_10sequential8seq_execEJNS15_ILl1EJNSR_IJNS16_INS0_16lambda_arg_seg_tELl0EEENS16_IS1E_Ll1EEEEEES1A_EEEEEENS15_ILl2EJNSR_IJS1F_EEES1A_EEEEEEEEENS0_9LoopTypesINSR_IJvvEEES1P_EEEEEEvT0_
; %bb.0:
	s_load_dwordx8 s[8:15], s[4:5], 0x0
	s_load_dwordx4 s[16:19], s[4:5], 0x20
	s_load_dwordx2 s[2:3], s[4:5], 0xf8
	s_mov_b32 s7, 0
	s_waitcnt lgkmcnt(0)
	s_sub_u32 s0, s10, s8
	s_subb_u32 s1, s11, s9
	s_lshl_b64 s[6:7], s[6:7], 8
	v_or_b32_e32 v2, s6, v0
	v_mov_b32_e32 v3, s7
	s_sub_u32 s14, s14, s12
	v_mov_b32_e32 v0, s17
	v_cmp_gt_i64_e64 s[0:1], s[0:1], v[2:3]
	v_mov_b32_e32 v4, s19
	s_subb_u32 s15, s15, s13
	v_cndmask_b32_e64 v1, v0, 0, s[0:1]
	v_mov_b32_e32 v0, s16
	v_cndmask_b32_e64 v5, v4, 0, s[0:1]
	v_mov_b32_e32 v4, s18
	v_cmp_lt_i64_e64 s[6:7], s[14:15], 1
	v_cndmask_b32_e64 v0, v0, 0, s[0:1]
	v_cndmask_b32_e64 v4, v4, 0, s[0:1]
	s_and_b64 vcc, exec, s[6:7]
	s_cbranch_vccnz .LBB1_5
; %bb.1:
	s_load_dwordx2 s[10:11], s[4:5], 0xc8
	s_load_dwordx2 s[16:17], s[4:5], 0xb0
	;; [unrolled: 1-line block ×5, first 2 shown]
	v_mov_b32_e32 v6, s9
	v_add_co_u32_e32 v8, vcc, s8, v2
	v_addc_co_u32_e32 v9, vcc, v6, v3, vcc
	s_waitcnt lgkmcnt(0)
	v_mul_lo_u32 v10, s21, v8
	v_mul_lo_u32 v11, s20, v9
	v_mad_u64_u32 v[6:7], s[20:21], s20, v8, 0
	s_lshl_b64 s[12:13], s[12:13], 3
	v_add3_u32 v7, v7, v11, v10
	s_add_u32 s6, s6, s12
	v_lshlrev_b64 v[6:7], 3, v[6:7]
	s_addc_u32 s7, s7, s13
	v_mov_b32_e32 v10, s7
	v_add_co_u32_e32 v6, vcc, s6, v6
	s_add_u32 s6, s18, s12
	v_addc_co_u32_e32 v7, vcc, v10, v7, vcc
	s_addc_u32 s7, s19, s13
	v_mul_lo_u32 v10, s11, v8
	v_mul_lo_u32 v11, s10, v9
	v_mad_u64_u32 v[8:9], s[10:11], s10, v8, 0
	v_add3_u32 v9, v9, v11, v10
	s_add_u32 s10, s16, s12
	v_lshlrev_b64 v[8:9], 3, v[8:9]
	s_addc_u32 s11, s17, s13
	v_mov_b32_e32 v10, s11
	v_add_co_u32_e32 v8, vcc, s10, v8
	v_addc_co_u32_e32 v9, vcc, v10, v9, vcc
	s_mov_b64 s[10:11], 0
	v_pk_mov_b32 v[10:11], s[14:15], s[14:15] op_sel:[0,1]
	s_branch .LBB1_3
.LBB1_2:                                ;   in Loop: Header=BB1_3 Depth=1
	s_or_b64 exec, exec, s[12:13]
	v_add_co_u32_e32 v6, vcc, 8, v6
	v_addc_co_u32_e32 v7, vcc, 0, v7, vcc
	s_add_u32 s10, s10, 1
	v_add_co_u32_e32 v8, vcc, 8, v8
	s_addc_u32 s11, s11, 0
	v_addc_co_u32_e32 v9, vcc, 0, v9, vcc
	s_add_u32 s6, s6, 8
	v_cmp_lt_i64_e32 vcc, s[10:11], v[10:11]
	s_addc_u32 s7, s7, 0
	s_cbranch_vccz .LBB1_5
.LBB1_3:                                ; =>This Inner Loop Header: Depth=1
	s_and_saveexec_b64 s[12:13], s[0:1]
	s_cbranch_execz .LBB1_2
; %bb.4:                                ;   in Loop: Header=BB1_3 Depth=1
	global_load_dwordx2 v[12:13], v[6:7], off
	global_load_dwordx2 v[14:15], v[8:9], off
	s_load_dwordx2 s[14:15], s[6:7], 0x0
	s_waitcnt vmcnt(1) lgkmcnt(0)
	v_fmac_f64_e32 v[0:1], s[14:15], v[12:13]
	s_waitcnt vmcnt(0)
	v_fmac_f64_e32 v[4:5], s[14:15], v[14:15]
	s_branch .LBB1_2
.LBB1_5:
	s_load_dwordx4 s[4:7], s[4:5], 0x120
	s_and_saveexec_b64 s[10:11], s[0:1]
	s_cbranch_execz .LBB1_7
; %bb.6:
	s_lshl_b64 s[0:1], s[8:9], 3
	s_add_u32 s0, s0, s2
	v_lshlrev_b64 v[2:3], 3, v[2:3]
	s_addc_u32 s1, s1, s3
	v_mov_b32_e32 v6, s1
	v_add_co_u32_e32 v2, vcc, s0, v2
	s_waitcnt lgkmcnt(0)
	v_mul_f64 v[4:5], s[6:7], v[4:5]
	v_addc_co_u32_e32 v3, vcc, v6, v3, vcc
	v_fmac_f64_e32 v[4:5], s[4:5], v[0:1]
	global_store_dwordx2 v[2:3], v[4:5], off
.LBB1_7:
	s_endpgm
	.section	.rodata,"a",@progbits
	.p2align	6, 0x0
	.amdhsa_kernel _ZN4RAJA8internal22HipKernelLauncherFixedILi256ENS0_8LoopDataIN4camp5tupleIJNS_4SpanINS_9Iterators16numeric_iteratorIllPlEElEESA_EEENS4_IJddEEENS3_9resources2v13HipEJZN8rajaperf9polybench17POLYBENCH_GESUMMV17runHipVariantImplILm256EEEvNSG_9VariantIDEEUlRdSL_E_ZNSJ_ILm256EEEvSK_EUlllSL_SL_E_ZNSJ_ILm256EEEvSK_EUllSL_SL_E_EEENS0_24HipStatementListExecutorISP_NS3_4listIJNS_9statement3ForILl0ENS_6policy3hip11hip_indexerINS_17iteration_mapping6DirectELNS_23kernel_sync_requirementE0EJNS_3hip11IndexGlobalILNS_9named_dimE0ELi256ELi0EEEEEEJNSS_6LambdaILl0EJNSR_IJNS0_9LambdaArgINS0_18lambda_arg_param_tELl0EEENS16_IS17_Ll1EEEEEEEEENST_ILl1ENSU_10sequential8seq_execEJNS15_ILl1EJNSR_IJNS16_INS0_16lambda_arg_seg_tELl0EEENS16_IS1E_Ll1EEEEEES1A_EEEEEENS15_ILl2EJNSR_IJS1F_EEES1A_EEEEEEEEENS0_9LoopTypesINSR_IJvvEEES1P_EEEEEEvT0_
		.amdhsa_group_segment_fixed_size 0
		.amdhsa_private_segment_fixed_size 0
		.amdhsa_kernarg_size 328
		.amdhsa_user_sgpr_count 6
		.amdhsa_user_sgpr_private_segment_buffer 1
		.amdhsa_user_sgpr_dispatch_ptr 0
		.amdhsa_user_sgpr_queue_ptr 0
		.amdhsa_user_sgpr_kernarg_segment_ptr 1
		.amdhsa_user_sgpr_dispatch_id 0
		.amdhsa_user_sgpr_flat_scratch_init 0
		.amdhsa_user_sgpr_kernarg_preload_length 0
		.amdhsa_user_sgpr_kernarg_preload_offset 0
		.amdhsa_user_sgpr_private_segment_size 0
		.amdhsa_uses_dynamic_stack 0
		.amdhsa_system_sgpr_private_segment_wavefront_offset 0
		.amdhsa_system_sgpr_workgroup_id_x 1
		.amdhsa_system_sgpr_workgroup_id_y 0
		.amdhsa_system_sgpr_workgroup_id_z 0
		.amdhsa_system_sgpr_workgroup_info 0
		.amdhsa_system_vgpr_workitem_id 0
		.amdhsa_next_free_vgpr 16
		.amdhsa_next_free_sgpr 22
		.amdhsa_accum_offset 16
		.amdhsa_reserve_vcc 1
		.amdhsa_reserve_flat_scratch 0
		.amdhsa_float_round_mode_32 0
		.amdhsa_float_round_mode_16_64 0
		.amdhsa_float_denorm_mode_32 3
		.amdhsa_float_denorm_mode_16_64 3
		.amdhsa_dx10_clamp 1
		.amdhsa_ieee_mode 1
		.amdhsa_fp16_overflow 0
		.amdhsa_tg_split 0
		.amdhsa_exception_fp_ieee_invalid_op 0
		.amdhsa_exception_fp_denorm_src 0
		.amdhsa_exception_fp_ieee_div_zero 0
		.amdhsa_exception_fp_ieee_overflow 0
		.amdhsa_exception_fp_ieee_underflow 0
		.amdhsa_exception_fp_ieee_inexact 0
		.amdhsa_exception_int_div_zero 0
	.end_amdhsa_kernel
	.section	.text._ZN4RAJA8internal22HipKernelLauncherFixedILi256ENS0_8LoopDataIN4camp5tupleIJNS_4SpanINS_9Iterators16numeric_iteratorIllPlEElEESA_EEENS4_IJddEEENS3_9resources2v13HipEJZN8rajaperf9polybench17POLYBENCH_GESUMMV17runHipVariantImplILm256EEEvNSG_9VariantIDEEUlRdSL_E_ZNSJ_ILm256EEEvSK_EUlllSL_SL_E_ZNSJ_ILm256EEEvSK_EUllSL_SL_E_EEENS0_24HipStatementListExecutorISP_NS3_4listIJNS_9statement3ForILl0ENS_6policy3hip11hip_indexerINS_17iteration_mapping6DirectELNS_23kernel_sync_requirementE0EJNS_3hip11IndexGlobalILNS_9named_dimE0ELi256ELi0EEEEEEJNSS_6LambdaILl0EJNSR_IJNS0_9LambdaArgINS0_18lambda_arg_param_tELl0EEENS16_IS17_Ll1EEEEEEEEENST_ILl1ENSU_10sequential8seq_execEJNS15_ILl1EJNSR_IJNS16_INS0_16lambda_arg_seg_tELl0EEENS16_IS1E_Ll1EEEEEES1A_EEEEEENS15_ILl2EJNSR_IJS1F_EEES1A_EEEEEEEEENS0_9LoopTypesINSR_IJvvEEES1P_EEEEEEvT0_,"axG",@progbits,_ZN4RAJA8internal22HipKernelLauncherFixedILi256ENS0_8LoopDataIN4camp5tupleIJNS_4SpanINS_9Iterators16numeric_iteratorIllPlEElEESA_EEENS4_IJddEEENS3_9resources2v13HipEJZN8rajaperf9polybench17POLYBENCH_GESUMMV17runHipVariantImplILm256EEEvNSG_9VariantIDEEUlRdSL_E_ZNSJ_ILm256EEEvSK_EUlllSL_SL_E_ZNSJ_ILm256EEEvSK_EUllSL_SL_E_EEENS0_24HipStatementListExecutorISP_NS3_4listIJNS_9statement3ForILl0ENS_6policy3hip11hip_indexerINS_17iteration_mapping6DirectELNS_23kernel_sync_requirementE0EJNS_3hip11IndexGlobalILNS_9named_dimE0ELi256ELi0EEEEEEJNSS_6LambdaILl0EJNSR_IJNS0_9LambdaArgINS0_18lambda_arg_param_tELl0EEENS16_IS17_Ll1EEEEEEEEENST_ILl1ENSU_10sequential8seq_execEJNS15_ILl1EJNSR_IJNS16_INS0_16lambda_arg_seg_tELl0EEENS16_IS1E_Ll1EEEEEES1A_EEEEEENS15_ILl2EJNSR_IJS1F_EEES1A_EEEEEEEEENS0_9LoopTypesINSR_IJvvEEES1P_EEEEEEvT0_,comdat
.Lfunc_end1:
	.size	_ZN4RAJA8internal22HipKernelLauncherFixedILi256ENS0_8LoopDataIN4camp5tupleIJNS_4SpanINS_9Iterators16numeric_iteratorIllPlEElEESA_EEENS4_IJddEEENS3_9resources2v13HipEJZN8rajaperf9polybench17POLYBENCH_GESUMMV17runHipVariantImplILm256EEEvNSG_9VariantIDEEUlRdSL_E_ZNSJ_ILm256EEEvSK_EUlllSL_SL_E_ZNSJ_ILm256EEEvSK_EUllSL_SL_E_EEENS0_24HipStatementListExecutorISP_NS3_4listIJNS_9statement3ForILl0ENS_6policy3hip11hip_indexerINS_17iteration_mapping6DirectELNS_23kernel_sync_requirementE0EJNS_3hip11IndexGlobalILNS_9named_dimE0ELi256ELi0EEEEEEJNSS_6LambdaILl0EJNSR_IJNS0_9LambdaArgINS0_18lambda_arg_param_tELl0EEENS16_IS17_Ll1EEEEEEEEENST_ILl1ENSU_10sequential8seq_execEJNS15_ILl1EJNSR_IJNS16_INS0_16lambda_arg_seg_tELl0EEENS16_IS1E_Ll1EEEEEES1A_EEEEEENS15_ILl2EJNSR_IJS1F_EEES1A_EEEEEEEEENS0_9LoopTypesINSR_IJvvEEES1P_EEEEEEvT0_, .Lfunc_end1-_ZN4RAJA8internal22HipKernelLauncherFixedILi256ENS0_8LoopDataIN4camp5tupleIJNS_4SpanINS_9Iterators16numeric_iteratorIllPlEElEESA_EEENS4_IJddEEENS3_9resources2v13HipEJZN8rajaperf9polybench17POLYBENCH_GESUMMV17runHipVariantImplILm256EEEvNSG_9VariantIDEEUlRdSL_E_ZNSJ_ILm256EEEvSK_EUlllSL_SL_E_ZNSJ_ILm256EEEvSK_EUllSL_SL_E_EEENS0_24HipStatementListExecutorISP_NS3_4listIJNS_9statement3ForILl0ENS_6policy3hip11hip_indexerINS_17iteration_mapping6DirectELNS_23kernel_sync_requirementE0EJNS_3hip11IndexGlobalILNS_9named_dimE0ELi256ELi0EEEEEEJNSS_6LambdaILl0EJNSR_IJNS0_9LambdaArgINS0_18lambda_arg_param_tELl0EEENS16_IS17_Ll1EEEEEEEEENST_ILl1ENSU_10sequential8seq_execEJNS15_ILl1EJNSR_IJNS16_INS0_16lambda_arg_seg_tELl0EEENS16_IS1E_Ll1EEEEEES1A_EEEEEENS15_ILl2EJNSR_IJS1F_EEES1A_EEEEEEEEENS0_9LoopTypesINSR_IJvvEEES1P_EEEEEEvT0_
                                        ; -- End function
	.section	.AMDGPU.csdata,"",@progbits
; Kernel info:
; codeLenInByte = 508
; NumSgprs: 26
; NumVgprs: 16
; NumAgprs: 0
; TotalNumVgprs: 16
; ScratchSize: 0
; MemoryBound: 1
; FloatMode: 240
; IeeeMode: 1
; LDSByteSize: 0 bytes/workgroup (compile time only)
; SGPRBlocks: 3
; VGPRBlocks: 1
; NumSGPRsForWavesPerEU: 26
; NumVGPRsForWavesPerEU: 16
; AccumOffset: 16
; Occupancy: 8
; WaveLimiterHint : 1
; COMPUTE_PGM_RSRC2:SCRATCH_EN: 0
; COMPUTE_PGM_RSRC2:USER_SGPR: 6
; COMPUTE_PGM_RSRC2:TRAP_HANDLER: 0
; COMPUTE_PGM_RSRC2:TGID_X_EN: 1
; COMPUTE_PGM_RSRC2:TGID_Y_EN: 0
; COMPUTE_PGM_RSRC2:TGID_Z_EN: 0
; COMPUTE_PGM_RSRC2:TIDIG_COMP_CNT: 0
; COMPUTE_PGM_RSRC3_GFX90A:ACCUM_OFFSET: 3
; COMPUTE_PGM_RSRC3_GFX90A:TG_SPLIT: 0
	.text
	.p2alignl 6, 3212836864
	.fill 256, 4, 3212836864
	.type	__hip_cuid_16977605fdb5c67c,@object ; @__hip_cuid_16977605fdb5c67c
	.section	.bss,"aw",@nobits
	.globl	__hip_cuid_16977605fdb5c67c
__hip_cuid_16977605fdb5c67c:
	.byte	0                               ; 0x0
	.size	__hip_cuid_16977605fdb5c67c, 1

	.ident	"AMD clang version 19.0.0git (https://github.com/RadeonOpenCompute/llvm-project roc-6.4.0 25133 c7fe45cf4b819c5991fe208aaa96edf142730f1d)"
	.section	".note.GNU-stack","",@progbits
	.addrsig
	.addrsig_sym __hip_cuid_16977605fdb5c67c
	.amdgpu_metadata
---
amdhsa.kernels:
  - .agpr_count:     0
    .args:
      - .address_space:  global
        .offset:         0
        .size:           8
        .value_kind:     global_buffer
      - .address_space:  global
        .offset:         8
        .size:           8
        .value_kind:     global_buffer
      - .address_space:  global
        .offset:         16
        .size:           8
        .value_kind:     global_buffer
      - .address_space:  global
        .offset:         24
        .size:           8
        .value_kind:     global_buffer
      - .offset:         32
        .size:           8
        .value_kind:     by_value
      - .offset:         40
        .size:           8
        .value_kind:     by_value
      - .offset:         48
        .size:           8
        .value_kind:     by_value
    .group_segment_fixed_size: 0
    .kernarg_segment_align: 8
    .kernarg_segment_size: 56
    .language:       OpenCL C
    .language_version:
      - 2
      - 0
    .max_flat_workgroup_size: 256
    .name:           _ZN8rajaperf9polybench12poly_gesummvILm256EEEvPdS2_S2_S2_ddl
    .private_segment_fixed_size: 0
    .sgpr_count:     24
    .sgpr_spill_count: 0
    .symbol:         _ZN8rajaperf9polybench12poly_gesummvILm256EEEvPdS2_S2_S2_ddl.kd
    .uniform_work_group_size: 1
    .uses_dynamic_stack: false
    .vgpr_count:     14
    .vgpr_spill_count: 0
    .wavefront_size: 64
  - .agpr_count:     0
    .args:
      - .offset:         0
        .size:           328
        .value_kind:     by_value
    .group_segment_fixed_size: 0
    .kernarg_segment_align: 8
    .kernarg_segment_size: 328
    .language:       OpenCL C
    .language_version:
      - 2
      - 0
    .max_flat_workgroup_size: 256
    .name:           _ZN4RAJA8internal22HipKernelLauncherFixedILi256ENS0_8LoopDataIN4camp5tupleIJNS_4SpanINS_9Iterators16numeric_iteratorIllPlEElEESA_EEENS4_IJddEEENS3_9resources2v13HipEJZN8rajaperf9polybench17POLYBENCH_GESUMMV17runHipVariantImplILm256EEEvNSG_9VariantIDEEUlRdSL_E_ZNSJ_ILm256EEEvSK_EUlllSL_SL_E_ZNSJ_ILm256EEEvSK_EUllSL_SL_E_EEENS0_24HipStatementListExecutorISP_NS3_4listIJNS_9statement3ForILl0ENS_6policy3hip11hip_indexerINS_17iteration_mapping6DirectELNS_23kernel_sync_requirementE0EJNS_3hip11IndexGlobalILNS_9named_dimE0ELi256ELi0EEEEEEJNSS_6LambdaILl0EJNSR_IJNS0_9LambdaArgINS0_18lambda_arg_param_tELl0EEENS16_IS17_Ll1EEEEEEEEENST_ILl1ENSU_10sequential8seq_execEJNS15_ILl1EJNSR_IJNS16_INS0_16lambda_arg_seg_tELl0EEENS16_IS1E_Ll1EEEEEES1A_EEEEEENS15_ILl2EJNSR_IJS1F_EEES1A_EEEEEEEEENS0_9LoopTypesINSR_IJvvEEES1P_EEEEEEvT0_
    .private_segment_fixed_size: 0
    .sgpr_count:     26
    .sgpr_spill_count: 0
    .symbol:         _ZN4RAJA8internal22HipKernelLauncherFixedILi256ENS0_8LoopDataIN4camp5tupleIJNS_4SpanINS_9Iterators16numeric_iteratorIllPlEElEESA_EEENS4_IJddEEENS3_9resources2v13HipEJZN8rajaperf9polybench17POLYBENCH_GESUMMV17runHipVariantImplILm256EEEvNSG_9VariantIDEEUlRdSL_E_ZNSJ_ILm256EEEvSK_EUlllSL_SL_E_ZNSJ_ILm256EEEvSK_EUllSL_SL_E_EEENS0_24HipStatementListExecutorISP_NS3_4listIJNS_9statement3ForILl0ENS_6policy3hip11hip_indexerINS_17iteration_mapping6DirectELNS_23kernel_sync_requirementE0EJNS_3hip11IndexGlobalILNS_9named_dimE0ELi256ELi0EEEEEEJNSS_6LambdaILl0EJNSR_IJNS0_9LambdaArgINS0_18lambda_arg_param_tELl0EEENS16_IS17_Ll1EEEEEEEEENST_ILl1ENSU_10sequential8seq_execEJNS15_ILl1EJNSR_IJNS16_INS0_16lambda_arg_seg_tELl0EEENS16_IS1E_Ll1EEEEEES1A_EEEEEENS15_ILl2EJNSR_IJS1F_EEES1A_EEEEEEEEENS0_9LoopTypesINSR_IJvvEEES1P_EEEEEEvT0_.kd
    .uniform_work_group_size: 1
    .uses_dynamic_stack: false
    .vgpr_count:     16
    .vgpr_spill_count: 0
    .wavefront_size: 64
amdhsa.target:   amdgcn-amd-amdhsa--gfx90a
amdhsa.version:
  - 1
  - 2
...

	.end_amdgpu_metadata
